;; amdgpu-corpus repo=zjin-lcf/HeCBench kind=compiled arch=gfx1250 opt=O3
	.amdgcn_target "amdgcn-amd-amdhsa--gfx1250"
	.amdhsa_code_object_version 6
	.text
	.protected	_Z7mr32_sfPKjS0_Pii     ; -- Begin function _Z7mr32_sfPKjS0_Pii
	.globl	_Z7mr32_sfPKjS0_Pii
	.p2align	8
	.type	_Z7mr32_sfPKjS0_Pii,@function
_Z7mr32_sfPKjS0_Pii:                    ; @_Z7mr32_sfPKjS0_Pii
; %bb.0:
	s_clause 0x1
	s_load_b32 s2, s[0:1], 0x2c
	s_load_b32 s3, s[0:1], 0x18
	s_bfe_u32 s4, ttmp6, 0x4000c
	s_and_b32 s5, ttmp6, 15
	s_add_co_i32 s4, s4, 1
	s_getreg_b32 s6, hwreg(HW_REG_IB_STS2, 6, 4)
	s_mul_i32 s4, ttmp9, s4
	s_mov_b32 s10, 1
	s_add_co_i32 s5, s5, s4
	s_wait_kmcnt 0x0
	s_and_b32 s2, s2, 0xffff
	s_cmp_eq_u32 s6, 0
	s_cselect_b32 s4, ttmp9, s5
	s_delay_alu instid0(SALU_CYCLE_1) | instskip(NEXT) | instid1(VALU_DEP_1)
	v_mad_u32 v0, s4, s2, v0
	v_cmp_gt_i32_e32 vcc_lo, s3, v0
	s_mov_b32 s3, 0
	s_and_saveexec_b32 s2, vcc_lo
	s_cbranch_execz .LBB0_49
; %bb.1:
	s_clause 0x1
	s_load_b128 s[4:7], s[0:1], 0x0
	s_load_b64 s[8:9], s[0:1], 0x10
	s_wait_kmcnt 0x0
	global_load_b32 v0, v0, s[6:7] scale_offset
	s_wait_loadcnt 0x0
	v_cvt_f32_u32_e32 v1, v0
	v_cvt_f32_u32_e32 v2, v0
	v_dual_sub_nc_u32 v3, 0, v0 :: v_dual_add_nc_u32 v18, -1, v0
	s_delay_alu instid0(VALU_DEP_3) | instskip(NEXT) | instid1(VALU_DEP_2)
	v_rcp_iflag_f32_e32 v1, v1
	v_fmamk_f32 v2, 0, 0x4f800000, v2
	s_delay_alu instid0(VALU_DEP_2) | instskip(NEXT) | instid1(VALU_DEP_2)
	v_and_b32_e32 v8, 1, v18
	v_rcp_f32_e32 v2, v2
	s_delay_alu instid0(TRANS32_DEP_2) | instskip(NEXT) | instid1(VALU_DEP_2)
	v_mul_f32_e32 v1, 0x4f7ffffe, v1
	v_cmp_eq_u32_e64 s0, 0, v8
	s_delay_alu instid0(VALU_DEP_2) | instskip(NEXT) | instid1(VALU_DEP_1)
	v_cvt_u32_f32_e32 v4, v1
	v_mul_lo_u32 v1, v3, v4
	s_delay_alu instid0(TRANS32_DEP_1) | instskip(NEXT) | instid1(VALU_DEP_2)
	v_dual_mul_f32 v3, 0x5f7ffffc, v2 :: v_dual_mov_b32 v2, 0
	v_mul_hi_u32 v9, v4, v1
	s_delay_alu instid0(VALU_DEP_2) | instskip(NEXT) | instid1(VALU_DEP_3)
	v_mul_f32_e32 v5, 0x2f800000, v3
	v_mov_b32_e32 v1, v2
	s_delay_alu instid0(VALU_DEP_1) | instskip(NEXT) | instid1(VALU_DEP_4)
	v_sub_nc_u64_e32 v[6:7], 0, v[0:1]
	v_add_nc_u32_e32 v4, v4, v9
	s_delay_alu instid0(VALU_DEP_4) | instskip(SKIP_1) | instid1(VALU_DEP_2)
	v_trunc_f32_e32 v10, v5
	v_mov_b32_e32 v5, v2
	v_fmamk_f32 v3, v10, 0xcf800000, v3
	v_cvt_u32_f32_e32 v11, v10
	s_delay_alu instid0(VALU_DEP_2)
	v_cvt_u32_f32_e32 v8, v3
	s_branch .LBB0_3
.LBB0_2:                                ;   in Loop: Header=BB0_3 Depth=1
	s_wait_xcnt 0x0
	s_or_b32 exec_lo, exec_lo, s2
	s_add_co_i32 s10, s10, 1
	s_delay_alu instid0(SALU_CYCLE_1)
	s_cmp_lg_u32 s10, 4
	s_cbranch_scc0 .LBB0_49
.LBB0_3:                                ; =>This Loop Header: Depth=1
                                        ;     Child Loop BB0_5 Depth 2
                                        ;     Child Loop BB0_9 Depth 2
                                        ;       Child Loop BB0_14 Depth 3
                                        ;       Child Loop BB0_29 Depth 3
                                        ;     Child Loop BB0_46 Depth 2
	v_dual_mov_b32 v20, v2 :: v_dual_mov_b32 v19, v18
	s_and_saveexec_b32 s1, s0
	s_cbranch_execz .LBB0_7
; %bb.4:                                ;   in Loop: Header=BB0_3 Depth=1
	v_mov_b32_e32 v19, v18
	s_mov_b32 s2, 0
	s_mov_b32 s6, 0
.LBB0_5:                                ;   Parent Loop BB0_3 Depth=1
                                        ; =>  This Inner Loop Header: Depth=2
	s_delay_alu instid0(SALU_CYCLE_1)
	s_add_co_i32 s6, s6, 1
	s_delay_alu instid0(VALU_DEP_1) | instid1(SALU_CYCLE_1)
	v_dual_mov_b32 v20, s6 :: v_dual_bitop2_b32 v3, 2, v19 bitop3:0x40
	v_lshrrev_b32_e32 v19, 1, v19
	s_delay_alu instid0(VALU_DEP_2) | instskip(SKIP_1) | instid1(SALU_CYCLE_1)
	v_cmp_ne_u32_e32 vcc_lo, 0, v3
	s_or_b32 s2, vcc_lo, s2
	s_and_not1_b32 exec_lo, exec_lo, s2
	s_cbranch_execnz .LBB0_5
; %bb.6:                                ;   in Loop: Header=BB0_3 Depth=1
	s_or_b32 exec_lo, exec_lo, s2
.LBB0_7:                                ;   in Loop: Header=BB0_3 Depth=1
	s_delay_alu instid0(SALU_CYCLE_1) | instskip(NEXT) | instid1(VALU_DEP_1)
	s_or_b32 exec_lo, exec_lo, s1
	v_cmp_lt_u32_e64 s1, 1, v20
	s_mov_b32 s6, 0
	s_mov_b32 s7, 0
	s_branch .LBB0_9
.LBB0_8:                                ;   in Loop: Header=BB0_9 Depth=2
	s_or_b32 exec_lo, exec_lo, s11
	s_delay_alu instid0(SALU_CYCLE_1) | instskip(NEXT) | instid1(SALU_CYCLE_1)
	s_and_b32 s2, exec_lo, s2
	s_or_b32 s6, s2, s6
	s_delay_alu instid0(SALU_CYCLE_1)
	s_and_not1_b32 exec_lo, exec_lo, s6
	s_cbranch_execz .LBB0_45
.LBB0_9:                                ;   Parent Loop BB0_3 Depth=1
                                        ; =>  This Loop Header: Depth=2
                                        ;       Child Loop BB0_14 Depth 3
                                        ;       Child Loop BB0_29 Depth 3
	s_load_b32 s2, s[4:5], s7 offset:0x0 scale_offset
	s_mov_b32 s11, exec_lo
	s_wait_kmcnt 0x0
	v_mov_b32_e32 v14, s2
	v_cmpx_ge_u32_e64 s2, v0
	s_cbranch_execz .LBB0_11
; %bb.10:                               ;   in Loop: Header=BB0_9 Depth=2
	v_mul_u64_e32 v[12:13], s[2:3], v[4:5]
	s_delay_alu instid0(VALU_DEP_1) | instskip(NEXT) | instid1(VALU_DEP_1)
	v_mul_lo_u32 v3, v13, v0
	v_sub_nc_u32_e32 v3, s2, v3
	s_delay_alu instid0(VALU_DEP_1) | instskip(SKIP_1) | instid1(VALU_DEP_2)
	v_sub_nc_u32_e32 v9, v3, v0
	v_cmp_ge_u32_e32 vcc_lo, v3, v0
	v_cndmask_b32_e32 v3, v3, v9, vcc_lo
	s_delay_alu instid0(VALU_DEP_1) | instskip(SKIP_1) | instid1(VALU_DEP_2)
	v_sub_nc_u32_e32 v9, v3, v0
	v_cmp_ge_u32_e32 vcc_lo, v3, v0
	v_cndmask_b32_e32 v14, v3, v9, vcc_lo
.LBB0_11:                               ;   in Loop: Header=BB0_9 Depth=2
	s_or_b32 exec_lo, exec_lo, s11
	v_mov_b32_e32 v16, 6
	s_mov_b32 s11, exec_lo
	s_delay_alu instid0(VALU_DEP_2)
	v_cmpx_ne_u32_e32 0, v14
	s_cbranch_execz .LBB0_41
; %bb.12:                               ;   in Loop: Header=BB0_9 Depth=2
	v_mov_b64_e32 v[12:13], 1
	v_dual_mov_b32 v15, v2 :: v_dual_mov_b32 v21, v19
	s_mov_b32 s12, 0
	s_branch .LBB0_14
.LBB0_13:                               ;   in Loop: Header=BB0_14 Depth=3
	s_or_b32 exec_lo, exec_lo, s2
	v_lshrrev_b32_e32 v3, 1, v21
	v_cmp_gt_u32_e32 vcc_lo, 2, v21
	s_delay_alu instid0(VALU_DEP_2) | instskip(SKIP_1) | instid1(SALU_CYCLE_1)
	v_mov_b32_e32 v21, v3
	s_or_b32 s12, vcc_lo, s12
	s_and_not1_b32 exec_lo, exec_lo, s12
	s_cbranch_execz .LBB0_24
.LBB0_14:                               ;   Parent Loop BB0_3 Depth=1
                                        ;     Parent Loop BB0_9 Depth=2
                                        ; =>    This Inner Loop Header: Depth=3
	s_delay_alu instid0(VALU_DEP_1) | instskip(SKIP_1) | instid1(VALU_DEP_1)
	v_and_b32_e32 v3, 1, v21
	s_mov_b32 s13, exec_lo
	v_cmpx_eq_u32_e32 1, v3
	s_cbranch_execz .LBB0_20
; %bb.15:                               ;   in Loop: Header=BB0_14 Depth=3
	v_mul_u64_e32 v[16:17], v[14:15], v[12:13]
                                        ; implicit-def: $vgpr12_vgpr13
	s_mov_b32 s2, exec_lo
	s_delay_alu instid0(VALU_DEP_1) | instskip(NEXT) | instid1(VALU_DEP_1)
	v_mov_b32_e32 v3, v17
	v_cmpx_ne_u64_e32 0, v[2:3]
	s_xor_b32 s14, exec_lo, s2
	s_cbranch_execz .LBB0_17
; %bb.16:                               ;   in Loop: Header=BB0_14 Depth=3
	v_dual_mov_b32 v10, v8 :: v_dual_mov_b32 v9, v2
	v_dual_mov_b32 v24, v11 :: v_dual_mov_b32 v25, v2
	s_delay_alu instid0(VALU_DEP_2) | instskip(NEXT) | instid1(VALU_DEP_1)
	v_mul_u64_e32 v[12:13], v[6:7], v[10:11]
	v_dual_mov_b32 v23, v2 :: v_dual_mov_b32 v22, v13
	v_mov_b32_e32 v13, v2
	s_delay_alu instid0(VALU_DEP_2) | instskip(NEXT) | instid1(VALU_DEP_2)
	v_mul_u64_e32 v[26:27], v[8:9], v[22:23]
	v_mul_u64_e32 v[28:29], v[24:25], v[12:13]
	;; [unrolled: 1-line block ×3, first 2 shown]
	v_mul_hi_u32 v12, v8, v12
	s_delay_alu instid0(VALU_DEP_1) | instskip(SKIP_1) | instid1(VALU_DEP_2)
	v_add_nc_u64_e32 v[12:13], v[12:13], v[26:27]
	v_mov_b32_e32 v27, v2
	v_add_co_u32 v3, vcc_lo, v12, v28
	s_delay_alu instid0(VALU_DEP_3) | instskip(SKIP_1) | instid1(VALU_DEP_1)
	v_add_co_ci_u32_e32 v24, vcc_lo, v13, v29, vcc_lo
	v_add_co_ci_u32_e32 v23, vcc_lo, 0, v23, vcc_lo
	v_add_nc_u64_e32 v[12:13], v[24:25], v[22:23]
	v_mov_b32_e32 v23, v2
	s_delay_alu instid0(VALU_DEP_2) | instskip(NEXT) | instid1(VALU_DEP_1)
	v_add_co_u32 v12, vcc_lo, v8, v12
	v_add_co_ci_u32_e64 v22, null, v11, v13, vcc_lo
	s_delay_alu instid0(VALU_DEP_1) | instskip(NEXT) | instid1(VALU_DEP_1)
	v_mov_b32_e32 v13, v22
	v_mul_u64_e32 v[24:25], v[6:7], v[12:13]
	v_dual_mov_b32 v13, v2 :: v_dual_mov_b32 v31, v2
	s_delay_alu instid0(VALU_DEP_2) | instskip(SKIP_2) | instid1(VALU_DEP_3)
	v_dual_mov_b32 v30, v24 :: v_dual_mov_b32 v26, v25
	v_mul_hi_u32 v24, v12, v24
	v_mov_b32_e32 v25, v2
	v_mul_u64_e32 v[30:31], v[22:23], v[30:31]
	s_delay_alu instid0(VALU_DEP_4) | instskip(SKIP_1) | instid1(VALU_DEP_2)
	v_mul_u64_e32 v[28:29], v[12:13], v[26:27]
	v_mul_u64_e32 v[26:27], v[22:23], v[26:27]
	v_add_nc_u64_e32 v[24:25], v[24:25], v[28:29]
	v_mov_b32_e32 v29, v2
	s_delay_alu instid0(VALU_DEP_2) | instskip(NEXT) | instid1(VALU_DEP_3)
	v_add_co_u32 v3, vcc_lo, v24, v30
	v_add_co_ci_u32_e32 v28, vcc_lo, v25, v31, vcc_lo
	v_add_co_ci_u32_e32 v27, vcc_lo, 0, v27, vcc_lo
	s_delay_alu instid0(VALU_DEP_1) | instskip(SKIP_1) | instid1(VALU_DEP_2)
	v_add_nc_u64_e32 v[24:25], v[28:29], v[26:27]
	v_dual_mov_b32 v26, v16 :: v_dual_mov_b32 v27, v2
	v_add_co_u32 v24, vcc_lo, v12, v24
	s_delay_alu instid0(VALU_DEP_1) | instskip(SKIP_1) | instid1(VALU_DEP_2)
	v_add_co_ci_u32_e64 v12, null, v22, v25, vcc_lo
	v_dual_mov_b32 v22, v17 :: v_dual_mov_b32 v25, v2
	v_mul_u64_e32 v[26:27], v[26:27], v[12:13]
	s_delay_alu instid0(VALU_DEP_2) | instskip(NEXT) | instid1(VALU_DEP_3)
	v_mul_u64_e32 v[12:13], v[22:23], v[12:13]
	v_mul_u64_e32 v[28:29], v[22:23], v[24:25]
	v_mul_hi_u32 v22, v16, v24
	s_delay_alu instid0(VALU_DEP_1) | instskip(NEXT) | instid1(VALU_DEP_1)
	v_add_nc_u64_e32 v[22:23], v[22:23], v[26:27]
	v_add_co_u32 v3, vcc_lo, v22, v28
	s_delay_alu instid0(VALU_DEP_2) | instskip(SKIP_1) | instid1(VALU_DEP_1)
	v_add_co_ci_u32_e32 v24, vcc_lo, v23, v29, vcc_lo
	v_add_co_ci_u32_e32 v13, vcc_lo, 0, v13, vcc_lo
	v_add_nc_u64_e32 v[12:13], v[24:25], v[12:13]
	s_delay_alu instid0(VALU_DEP_1) | instskip(NEXT) | instid1(VALU_DEP_1)
	v_mul_u64_e32 v[12:13], v[0:1], v[12:13]
	v_sub_co_u32 v3, vcc_lo, v16, v12
	s_delay_alu instid0(VALU_DEP_1) | instskip(NEXT) | instid1(VALU_DEP_2)
	v_sub_co_ci_u32_e64 v9, null, v17, v13, vcc_lo
	v_sub_co_u32 v10, vcc_lo, v3, v0
	s_delay_alu instid0(VALU_DEP_1) | instskip(SKIP_1) | instid1(VALU_DEP_3)
	v_subrev_co_ci_u32_e64 v12, null, 0, v9, vcc_lo
	v_cmp_eq_u32_e64 s2, 0, v9
	v_cmp_ge_u32_e32 vcc_lo, v10, v0
	v_cndmask_b32_e64 v13, 0, -1, vcc_lo
	v_cmp_ge_u32_e32 vcc_lo, v3, v0
	v_cndmask_b32_e64 v16, 0, -1, vcc_lo
	v_cmp_eq_u32_e32 vcc_lo, 0, v12
	s_delay_alu instid0(VALU_DEP_4) | instskip(SKIP_1) | instid1(VALU_DEP_1)
	v_cndmask_b32_e32 v13, -1, v13, vcc_lo
	v_sub_co_u32 v17, vcc_lo, v10, v0
	v_subrev_co_ci_u32_e64 v22, null, 0, v12, vcc_lo
	s_delay_alu instid0(VALU_DEP_3) | instskip(NEXT) | instid1(VALU_DEP_3)
	v_cmp_ne_u32_e32 vcc_lo, 0, v13
	v_dual_cndmask_b32 v13, -1, v16, s2 :: v_dual_cndmask_b32 v10, v10, v17, vcc_lo
	s_delay_alu instid0(VALU_DEP_3) | instskip(NEXT) | instid1(VALU_DEP_2)
	v_cndmask_b32_e32 v12, v12, v22, vcc_lo
	v_cmp_ne_u32_e32 vcc_lo, 0, v13
                                        ; implicit-def: $vgpr16_vgpr17
	s_delay_alu instid0(VALU_DEP_2)
	v_dual_cndmask_b32 v13, v9, v12 :: v_dual_cndmask_b32 v12, v3, v10
.LBB0_17:                               ;   in Loop: Header=BB0_14 Depth=3
	s_and_not1_saveexec_b32 s2, s14
	s_cbranch_execz .LBB0_19
; %bb.18:                               ;   in Loop: Header=BB0_14 Depth=3
	v_cvt_f32_u32_e32 v3, v0
	v_dual_sub_nc_u32 v9, 0, v0 :: v_dual_mov_b32 v13, v2
	s_delay_alu instid0(VALU_DEP_2) | instskip(SKIP_1) | instid1(TRANS32_DEP_1)
	v_rcp_iflag_f32_e32 v3, v3
	v_nop
	v_mul_f32_e32 v3, 0x4f7ffffe, v3
	s_delay_alu instid0(VALU_DEP_1) | instskip(NEXT) | instid1(VALU_DEP_1)
	v_cvt_u32_f32_e32 v3, v3
	v_mul_lo_u32 v9, v9, v3
	s_delay_alu instid0(VALU_DEP_1) | instskip(NEXT) | instid1(VALU_DEP_1)
	v_mul_hi_u32 v9, v3, v9
	v_add_nc_u32_e32 v3, v3, v9
	s_delay_alu instid0(VALU_DEP_1) | instskip(NEXT) | instid1(VALU_DEP_1)
	v_mul_hi_u32 v3, v16, v3
	v_mul_lo_u32 v3, v3, v0
	s_delay_alu instid0(VALU_DEP_1) | instskip(NEXT) | instid1(VALU_DEP_1)
	v_sub_nc_u32_e32 v3, v16, v3
	v_sub_nc_u32_e32 v9, v3, v0
	v_cmp_ge_u32_e32 vcc_lo, v3, v0
	s_delay_alu instid0(VALU_DEP_2) | instskip(NEXT) | instid1(VALU_DEP_1)
	v_cndmask_b32_e32 v3, v3, v9, vcc_lo
	v_sub_nc_u32_e32 v9, v3, v0
	v_cmp_ge_u32_e32 vcc_lo, v3, v0
	s_delay_alu instid0(VALU_DEP_2)
	v_cndmask_b32_e32 v12, v3, v9, vcc_lo
.LBB0_19:                               ;   in Loop: Header=BB0_14 Depth=3
	s_or_b32 exec_lo, exec_lo, s2
.LBB0_20:                               ;   in Loop: Header=BB0_14 Depth=3
	s_delay_alu instid0(SALU_CYCLE_1) | instskip(SKIP_2) | instid1(VALU_DEP_1)
	s_or_b32 exec_lo, exec_lo, s13
	v_mul_u64_e32 v[16:17], v[14:15], v[14:15]
                                        ; implicit-def: $vgpr14_vgpr15
	s_mov_b32 s2, exec_lo
	v_mov_b32_e32 v3, v17
	s_delay_alu instid0(VALU_DEP_1)
	v_cmpx_ne_u64_e32 0, v[2:3]
	s_xor_b32 s13, exec_lo, s2
	s_cbranch_execz .LBB0_22
; %bb.21:                               ;   in Loop: Header=BB0_14 Depth=3
	v_dual_mov_b32 v10, v8 :: v_dual_mov_b32 v9, v2
	v_dual_mov_b32 v24, v11 :: v_dual_mov_b32 v25, v2
	s_delay_alu instid0(VALU_DEP_2) | instskip(NEXT) | instid1(VALU_DEP_1)
	v_mul_u64_e32 v[14:15], v[6:7], v[10:11]
	v_dual_mov_b32 v23, v2 :: v_dual_mov_b32 v22, v15
	v_mov_b32_e32 v15, v2
	s_delay_alu instid0(VALU_DEP_2) | instskip(NEXT) | instid1(VALU_DEP_2)
	v_mul_u64_e32 v[26:27], v[8:9], v[22:23]
	v_mul_u64_e32 v[28:29], v[24:25], v[14:15]
	;; [unrolled: 1-line block ×3, first 2 shown]
	v_mul_hi_u32 v14, v8, v14
	s_delay_alu instid0(VALU_DEP_1) | instskip(SKIP_1) | instid1(VALU_DEP_2)
	v_add_nc_u64_e32 v[14:15], v[14:15], v[26:27]
	v_mov_b32_e32 v27, v2
	v_add_co_u32 v3, vcc_lo, v14, v28
	s_delay_alu instid0(VALU_DEP_3) | instskip(SKIP_1) | instid1(VALU_DEP_1)
	v_add_co_ci_u32_e32 v24, vcc_lo, v15, v29, vcc_lo
	v_add_co_ci_u32_e32 v23, vcc_lo, 0, v23, vcc_lo
	v_add_nc_u64_e32 v[14:15], v[24:25], v[22:23]
	v_mov_b32_e32 v23, v2
	s_delay_alu instid0(VALU_DEP_2) | instskip(NEXT) | instid1(VALU_DEP_1)
	v_add_co_u32 v14, vcc_lo, v8, v14
	v_add_co_ci_u32_e64 v22, null, v11, v15, vcc_lo
	s_delay_alu instid0(VALU_DEP_1) | instskip(NEXT) | instid1(VALU_DEP_1)
	v_mov_b32_e32 v15, v22
	v_mul_u64_e32 v[24:25], v[6:7], v[14:15]
	v_dual_mov_b32 v15, v2 :: v_dual_mov_b32 v31, v2
	s_delay_alu instid0(VALU_DEP_2) | instskip(SKIP_2) | instid1(VALU_DEP_3)
	v_dual_mov_b32 v30, v24 :: v_dual_mov_b32 v26, v25
	v_mul_hi_u32 v24, v14, v24
	v_mov_b32_e32 v25, v2
	v_mul_u64_e32 v[30:31], v[22:23], v[30:31]
	s_delay_alu instid0(VALU_DEP_4) | instskip(SKIP_1) | instid1(VALU_DEP_2)
	v_mul_u64_e32 v[28:29], v[14:15], v[26:27]
	v_mul_u64_e32 v[26:27], v[22:23], v[26:27]
	v_add_nc_u64_e32 v[24:25], v[24:25], v[28:29]
	v_mov_b32_e32 v29, v2
	s_delay_alu instid0(VALU_DEP_2) | instskip(NEXT) | instid1(VALU_DEP_3)
	v_add_co_u32 v3, vcc_lo, v24, v30
	v_add_co_ci_u32_e32 v28, vcc_lo, v25, v31, vcc_lo
	v_add_co_ci_u32_e32 v27, vcc_lo, 0, v27, vcc_lo
	s_delay_alu instid0(VALU_DEP_1) | instskip(SKIP_1) | instid1(VALU_DEP_2)
	v_add_nc_u64_e32 v[24:25], v[28:29], v[26:27]
	v_dual_mov_b32 v26, v16 :: v_dual_mov_b32 v27, v2
	v_add_co_u32 v24, vcc_lo, v14, v24
	s_delay_alu instid0(VALU_DEP_1) | instskip(SKIP_1) | instid1(VALU_DEP_2)
	v_add_co_ci_u32_e64 v14, null, v22, v25, vcc_lo
	v_dual_mov_b32 v22, v17 :: v_dual_mov_b32 v25, v2
	v_mul_u64_e32 v[26:27], v[26:27], v[14:15]
	s_delay_alu instid0(VALU_DEP_2) | instskip(NEXT) | instid1(VALU_DEP_3)
	v_mul_u64_e32 v[14:15], v[22:23], v[14:15]
	v_mul_u64_e32 v[28:29], v[22:23], v[24:25]
	v_mul_hi_u32 v22, v16, v24
	s_delay_alu instid0(VALU_DEP_1) | instskip(NEXT) | instid1(VALU_DEP_1)
	v_add_nc_u64_e32 v[22:23], v[22:23], v[26:27]
	v_add_co_u32 v3, vcc_lo, v22, v28
	s_delay_alu instid0(VALU_DEP_2) | instskip(SKIP_1) | instid1(VALU_DEP_1)
	v_add_co_ci_u32_e32 v24, vcc_lo, v23, v29, vcc_lo
	v_add_co_ci_u32_e32 v15, vcc_lo, 0, v15, vcc_lo
	v_add_nc_u64_e32 v[14:15], v[24:25], v[14:15]
	s_delay_alu instid0(VALU_DEP_1) | instskip(NEXT) | instid1(VALU_DEP_1)
	v_mul_u64_e32 v[14:15], v[0:1], v[14:15]
	v_sub_co_u32 v3, vcc_lo, v16, v14
	s_delay_alu instid0(VALU_DEP_1) | instskip(NEXT) | instid1(VALU_DEP_2)
	v_sub_co_ci_u32_e64 v9, null, v17, v15, vcc_lo
	v_sub_co_u32 v10, vcc_lo, v3, v0
	s_delay_alu instid0(VALU_DEP_1) | instskip(SKIP_1) | instid1(VALU_DEP_3)
	v_subrev_co_ci_u32_e64 v14, null, 0, v9, vcc_lo
	v_cmp_eq_u32_e64 s2, 0, v9
	v_cmp_ge_u32_e32 vcc_lo, v10, v0
	v_cndmask_b32_e64 v15, 0, -1, vcc_lo
	v_cmp_ge_u32_e32 vcc_lo, v3, v0
	v_cndmask_b32_e64 v16, 0, -1, vcc_lo
	v_cmp_eq_u32_e32 vcc_lo, 0, v14
	s_delay_alu instid0(VALU_DEP_4) | instskip(SKIP_1) | instid1(VALU_DEP_1)
	v_cndmask_b32_e32 v15, -1, v15, vcc_lo
	v_sub_co_u32 v17, vcc_lo, v10, v0
	v_subrev_co_ci_u32_e64 v22, null, 0, v14, vcc_lo
	s_delay_alu instid0(VALU_DEP_3) | instskip(NEXT) | instid1(VALU_DEP_3)
	v_cmp_ne_u32_e32 vcc_lo, 0, v15
	v_dual_cndmask_b32 v15, -1, v16, s2 :: v_dual_cndmask_b32 v10, v10, v17, vcc_lo
	s_delay_alu instid0(VALU_DEP_3) | instskip(NEXT) | instid1(VALU_DEP_2)
	v_cndmask_b32_e32 v14, v14, v22, vcc_lo
	v_cmp_ne_u32_e32 vcc_lo, 0, v15
                                        ; implicit-def: $vgpr16_vgpr17
	s_delay_alu instid0(VALU_DEP_2) | instskip(NEXT) | instid1(VALU_DEP_4)
	v_cndmask_b32_e32 v15, v9, v14, vcc_lo
	v_cndmask_b32_e32 v14, v3, v10, vcc_lo
.LBB0_22:                               ;   in Loop: Header=BB0_14 Depth=3
	s_and_not1_saveexec_b32 s2, s13
	s_cbranch_execz .LBB0_13
; %bb.23:                               ;   in Loop: Header=BB0_14 Depth=3
	v_cvt_f32_u32_e32 v3, v0
	v_dual_sub_nc_u32 v9, 0, v0 :: v_dual_mov_b32 v15, v2
	s_delay_alu instid0(VALU_DEP_2) | instskip(SKIP_1) | instid1(TRANS32_DEP_1)
	v_rcp_iflag_f32_e32 v3, v3
	v_nop
	v_mul_f32_e32 v3, 0x4f7ffffe, v3
	s_delay_alu instid0(VALU_DEP_1) | instskip(NEXT) | instid1(VALU_DEP_1)
	v_cvt_u32_f32_e32 v3, v3
	v_mul_lo_u32 v9, v9, v3
	s_delay_alu instid0(VALU_DEP_1) | instskip(NEXT) | instid1(VALU_DEP_1)
	v_mul_hi_u32 v9, v3, v9
	v_add_nc_u32_e32 v3, v3, v9
	s_delay_alu instid0(VALU_DEP_1) | instskip(NEXT) | instid1(VALU_DEP_1)
	v_mul_hi_u32 v3, v16, v3
	v_mul_lo_u32 v3, v3, v0
	s_delay_alu instid0(VALU_DEP_1) | instskip(NEXT) | instid1(VALU_DEP_1)
	v_sub_nc_u32_e32 v3, v16, v3
	v_sub_nc_u32_e32 v9, v3, v0
	v_cmp_ge_u32_e32 vcc_lo, v3, v0
	s_delay_alu instid0(VALU_DEP_2) | instskip(NEXT) | instid1(VALU_DEP_1)
	v_cndmask_b32_e32 v3, v3, v9, vcc_lo
	v_sub_nc_u32_e32 v9, v3, v0
	v_cmp_ge_u32_e32 vcc_lo, v3, v0
	s_delay_alu instid0(VALU_DEP_2)
	v_cndmask_b32_e32 v14, v3, v9, vcc_lo
	s_branch .LBB0_13
.LBB0_24:                               ;   in Loop: Header=BB0_9 Depth=2
	s_or_b32 exec_lo, exec_lo, s12
	v_cmp_ne_u64_e32 vcc_lo, 1, v[12:13]
	v_cmp_ne_u32_e64 s2, v18, v12
	v_mov_b32_e32 v16, 6
	s_and_b32 s2, vcc_lo, s2
	s_delay_alu instid0(SALU_CYCLE_1)
	s_and_saveexec_b32 s12, s2
	s_cbranch_execz .LBB0_40
; %bb.25:                               ;   in Loop: Header=BB0_9 Depth=2
	v_dual_mov_b32 v16, 1 :: v_dual_mov_b32 v3, 1
	s_mov_b32 s2, -1
	s_and_saveexec_b32 s13, s1
	s_cbranch_execz .LBB0_37
; %bb.26:                               ;   in Loop: Header=BB0_9 Depth=2
	s_mov_b32 s15, 1
	s_mov_b32 s14, 0
                                        ; implicit-def: $sgpr16
	s_branch .LBB0_29
.LBB0_27:                               ;   in Loop: Header=BB0_29 Depth=3
	s_or_b32 exec_lo, exec_lo, s18
	s_delay_alu instid0(SALU_CYCLE_1)
	s_xor_b32 s18, exec_lo, -1
	s_or_not1_b32 s17, s17, exec_lo
.LBB0_28:                               ;   in Loop: Header=BB0_29 Depth=3
	s_or_b32 exec_lo, exec_lo, s2
	s_xor_b32 s2, s18, -1
	s_and_b32 s17, exec_lo, s17
	s_delay_alu instid0(SALU_CYCLE_1) | instskip(SKIP_2) | instid1(SALU_CYCLE_1)
	s_or_b32 s14, s17, s14
	s_and_not1_b32 s16, s16, exec_lo
	s_and_b32 s2, s2, exec_lo
	s_or_b32 s16, s16, s2
	s_and_not1_b32 exec_lo, exec_lo, s14
	s_cbranch_execz .LBB0_36
.LBB0_29:                               ;   Parent Loop BB0_3 Depth=1
                                        ;     Parent Loop BB0_9 Depth=2
                                        ; =>    This Inner Loop Header: Depth=3
	v_mul_u64_e32 v[14:15], v[12:13], v[12:13]
                                        ; implicit-def: $vgpr12_vgpr13
	s_mov_b32 s2, exec_lo
	s_delay_alu instid0(VALU_DEP_1) | instskip(NEXT) | instid1(VALU_DEP_1)
	v_mov_b32_e32 v3, v15
	v_cmpx_ne_u64_e32 0, v[2:3]
	s_xor_b32 s17, exec_lo, s2
	s_cbranch_execz .LBB0_31
; %bb.30:                               ;   in Loop: Header=BB0_29 Depth=3
	v_dual_mov_b32 v10, v8 :: v_dual_mov_b32 v9, v2
	v_dual_mov_b32 v24, v11 :: v_dual_mov_b32 v25, v2
	s_delay_alu instid0(VALU_DEP_2) | instskip(NEXT) | instid1(VALU_DEP_1)
	v_mul_u64_e32 v[12:13], v[6:7], v[10:11]
	v_dual_mov_b32 v23, v2 :: v_dual_mov_b32 v22, v13
	v_mov_b32_e32 v13, v2
	s_delay_alu instid0(VALU_DEP_2) | instskip(NEXT) | instid1(VALU_DEP_2)
	v_mul_u64_e32 v[26:27], v[8:9], v[22:23]
	v_mul_u64_e32 v[28:29], v[24:25], v[12:13]
	;; [unrolled: 1-line block ×3, first 2 shown]
	v_mul_hi_u32 v12, v8, v12
	s_delay_alu instid0(VALU_DEP_1) | instskip(SKIP_1) | instid1(VALU_DEP_2)
	v_add_nc_u64_e32 v[12:13], v[12:13], v[26:27]
	v_mov_b32_e32 v27, v2
	v_add_co_u32 v3, vcc_lo, v12, v28
	s_delay_alu instid0(VALU_DEP_3) | instskip(SKIP_1) | instid1(VALU_DEP_1)
	v_add_co_ci_u32_e32 v24, vcc_lo, v13, v29, vcc_lo
	v_add_co_ci_u32_e32 v23, vcc_lo, 0, v23, vcc_lo
	v_add_nc_u64_e32 v[12:13], v[24:25], v[22:23]
	v_mov_b32_e32 v23, v2
	s_delay_alu instid0(VALU_DEP_2) | instskip(NEXT) | instid1(VALU_DEP_1)
	v_add_co_u32 v12, vcc_lo, v8, v12
	v_add_co_ci_u32_e64 v22, null, v11, v13, vcc_lo
	s_delay_alu instid0(VALU_DEP_1) | instskip(NEXT) | instid1(VALU_DEP_1)
	v_mov_b32_e32 v13, v22
	v_mul_u64_e32 v[24:25], v[6:7], v[12:13]
	v_dual_mov_b32 v13, v2 :: v_dual_mov_b32 v31, v2
	s_delay_alu instid0(VALU_DEP_2) | instskip(SKIP_2) | instid1(VALU_DEP_3)
	v_dual_mov_b32 v30, v24 :: v_dual_mov_b32 v26, v25
	v_mul_hi_u32 v24, v12, v24
	v_mov_b32_e32 v25, v2
	v_mul_u64_e32 v[30:31], v[22:23], v[30:31]
	s_delay_alu instid0(VALU_DEP_4) | instskip(SKIP_1) | instid1(VALU_DEP_2)
	v_mul_u64_e32 v[28:29], v[12:13], v[26:27]
	v_mul_u64_e32 v[26:27], v[22:23], v[26:27]
	v_add_nc_u64_e32 v[24:25], v[24:25], v[28:29]
	v_mov_b32_e32 v29, v2
	s_delay_alu instid0(VALU_DEP_2) | instskip(NEXT) | instid1(VALU_DEP_3)
	v_add_co_u32 v3, vcc_lo, v24, v30
	v_add_co_ci_u32_e32 v28, vcc_lo, v25, v31, vcc_lo
	v_add_co_ci_u32_e32 v27, vcc_lo, 0, v27, vcc_lo
	s_delay_alu instid0(VALU_DEP_1) | instskip(SKIP_1) | instid1(VALU_DEP_2)
	v_add_nc_u64_e32 v[24:25], v[28:29], v[26:27]
	v_dual_mov_b32 v26, v14 :: v_dual_mov_b32 v27, v2
	v_add_co_u32 v24, vcc_lo, v12, v24
	s_delay_alu instid0(VALU_DEP_1) | instskip(SKIP_1) | instid1(VALU_DEP_2)
	v_add_co_ci_u32_e64 v12, null, v22, v25, vcc_lo
	v_dual_mov_b32 v22, v15 :: v_dual_mov_b32 v25, v2
	v_mul_u64_e32 v[26:27], v[26:27], v[12:13]
	s_delay_alu instid0(VALU_DEP_2) | instskip(NEXT) | instid1(VALU_DEP_3)
	v_mul_u64_e32 v[12:13], v[22:23], v[12:13]
	v_mul_u64_e32 v[28:29], v[22:23], v[24:25]
	v_mul_hi_u32 v22, v14, v24
	s_delay_alu instid0(VALU_DEP_1) | instskip(NEXT) | instid1(VALU_DEP_1)
	v_add_nc_u64_e32 v[22:23], v[22:23], v[26:27]
	v_add_co_u32 v3, vcc_lo, v22, v28
	s_delay_alu instid0(VALU_DEP_2) | instskip(SKIP_1) | instid1(VALU_DEP_1)
	v_add_co_ci_u32_e32 v24, vcc_lo, v23, v29, vcc_lo
	v_add_co_ci_u32_e32 v13, vcc_lo, 0, v13, vcc_lo
	v_add_nc_u64_e32 v[12:13], v[24:25], v[12:13]
	s_delay_alu instid0(VALU_DEP_1) | instskip(NEXT) | instid1(VALU_DEP_1)
	v_mul_u64_e32 v[12:13], v[0:1], v[12:13]
	v_sub_co_u32 v3, vcc_lo, v14, v12
	s_delay_alu instid0(VALU_DEP_1) | instskip(NEXT) | instid1(VALU_DEP_2)
	v_sub_co_ci_u32_e64 v9, null, v15, v13, vcc_lo
	v_sub_co_u32 v10, vcc_lo, v3, v0
	s_delay_alu instid0(VALU_DEP_1) | instskip(SKIP_1) | instid1(VALU_DEP_3)
	v_subrev_co_ci_u32_e64 v12, null, 0, v9, vcc_lo
	v_cmp_eq_u32_e64 s2, 0, v9
	v_cmp_ge_u32_e32 vcc_lo, v10, v0
	v_cndmask_b32_e64 v13, 0, -1, vcc_lo
	v_cmp_ge_u32_e32 vcc_lo, v3, v0
	v_cndmask_b32_e64 v14, 0, -1, vcc_lo
	v_cmp_eq_u32_e32 vcc_lo, 0, v12
	s_delay_alu instid0(VALU_DEP_4) | instskip(SKIP_1) | instid1(VALU_DEP_1)
	v_cndmask_b32_e32 v13, -1, v13, vcc_lo
	v_sub_co_u32 v15, vcc_lo, v10, v0
	v_subrev_co_ci_u32_e64 v17, null, 0, v12, vcc_lo
	s_delay_alu instid0(VALU_DEP_3) | instskip(NEXT) | instid1(VALU_DEP_2)
	v_cmp_ne_u32_e32 vcc_lo, 0, v13
	v_dual_cndmask_b32 v13, -1, v14, s2 :: v_dual_cndmask_b32 v12, v12, v17, vcc_lo
	s_delay_alu instid0(VALU_DEP_4) | instskip(NEXT) | instid1(VALU_DEP_2)
	v_cndmask_b32_e32 v10, v10, v15, vcc_lo
	v_cmp_ne_u32_e32 vcc_lo, 0, v13
                                        ; implicit-def: $vgpr14_vgpr15
	s_delay_alu instid0(VALU_DEP_2)
	v_dual_cndmask_b32 v13, v9, v12 :: v_dual_cndmask_b32 v12, v3, v10
.LBB0_31:                               ;   in Loop: Header=BB0_29 Depth=3
	s_and_not1_saveexec_b32 s2, s17
	s_cbranch_execz .LBB0_33
; %bb.32:                               ;   in Loop: Header=BB0_29 Depth=3
	v_cvt_f32_u32_e32 v3, v0
	v_dual_sub_nc_u32 v9, 0, v0 :: v_dual_mov_b32 v13, v2
	s_delay_alu instid0(VALU_DEP_2) | instskip(SKIP_1) | instid1(TRANS32_DEP_1)
	v_rcp_iflag_f32_e32 v3, v3
	v_nop
	v_mul_f32_e32 v3, 0x4f7ffffe, v3
	s_delay_alu instid0(VALU_DEP_1) | instskip(NEXT) | instid1(VALU_DEP_1)
	v_cvt_u32_f32_e32 v3, v3
	v_mul_lo_u32 v9, v9, v3
	s_delay_alu instid0(VALU_DEP_1) | instskip(NEXT) | instid1(VALU_DEP_1)
	v_mul_hi_u32 v9, v3, v9
	v_add_nc_u32_e32 v3, v3, v9
	s_delay_alu instid0(VALU_DEP_1) | instskip(NEXT) | instid1(VALU_DEP_1)
	v_mul_hi_u32 v3, v14, v3
	v_mul_lo_u32 v3, v3, v0
	s_delay_alu instid0(VALU_DEP_1) | instskip(NEXT) | instid1(VALU_DEP_1)
	v_sub_nc_u32_e32 v3, v14, v3
	v_sub_nc_u32_e32 v9, v3, v0
	v_cmp_ge_u32_e32 vcc_lo, v3, v0
	s_delay_alu instid0(VALU_DEP_2) | instskip(NEXT) | instid1(VALU_DEP_1)
	v_cndmask_b32_e32 v3, v3, v9, vcc_lo
	v_sub_nc_u32_e32 v9, v3, v0
	v_cmp_ge_u32_e32 vcc_lo, v3, v0
	s_delay_alu instid0(VALU_DEP_2)
	v_cndmask_b32_e32 v12, v3, v9, vcc_lo
.LBB0_33:                               ;   in Loop: Header=BB0_29 Depth=3
	s_or_b32 exec_lo, exec_lo, s2
	s_mov_b32 s17, -1
	s_mov_b32 s18, -1
	s_mov_b32 s2, exec_lo
                                        ; implicit-def: $vgpr3
	v_cmpx_ne_u64_e32 1, v[12:13]
	s_cbranch_execz .LBB0_28
; %bb.34:                               ;   in Loop: Header=BB0_29 Depth=3
	v_mov_b32_e32 v3, s15
	s_mov_b32 s18, exec_lo
	v_cmpx_ne_u32_e64 v18, v12
	s_cbranch_execz .LBB0_27
; %bb.35:                               ;   in Loop: Header=BB0_29 Depth=3
	s_add_co_i32 s15, s15, 1
	v_mov_b32_e32 v3, v20
	v_cmp_eq_u32_e32 vcc_lo, s15, v20
	s_or_not1_b32 s17, vcc_lo, exec_lo
	s_branch .LBB0_27
.LBB0_36:                               ;   in Loop: Header=BB0_9 Depth=2
	s_or_b32 exec_lo, exec_lo, s14
	s_delay_alu instid0(SALU_CYCLE_1)
	s_or_not1_b32 s2, s16, exec_lo
.LBB0_37:                               ;   in Loop: Header=BB0_9 Depth=2
	s_or_b32 exec_lo, exec_lo, s13
	s_and_saveexec_b32 s13, s2
; %bb.38:                               ;   in Loop: Header=BB0_9 Depth=2
	v_cmp_eq_u32_e32 vcc_lo, v3, v20
	v_cndmask_b32_e64 v16, 0, 1, vcc_lo
; %bb.39:                               ;   in Loop: Header=BB0_9 Depth=2
	s_or_b32 exec_lo, exec_lo, s13
.LBB0_40:                               ;   in Loop: Header=BB0_9 Depth=2
	s_delay_alu instid0(SALU_CYCLE_1)
	s_or_b32 exec_lo, exec_lo, s12
.LBB0_41:                               ;   in Loop: Header=BB0_9 Depth=2
	s_delay_alu instid0(SALU_CYCLE_1)
	s_or_b32 exec_lo, exec_lo, s11
	s_mov_b32 s2, -1
	s_mov_b32 s12, -1
	s_mov_b32 s11, exec_lo
	v_cmpx_gt_i32_e32 6, v16
; %bb.42:                               ;   in Loop: Header=BB0_9 Depth=2
	v_cmp_eq_u32_e32 vcc_lo, 0, v16
	s_or_not1_b32 s12, vcc_lo, exec_lo
; %bb.43:                               ;   in Loop: Header=BB0_9 Depth=2
	s_or_b32 exec_lo, exec_lo, s11
	v_mov_b32_e32 v3, 0
	s_and_saveexec_b32 s11, s12
	s_cbranch_execz .LBB0_8
; %bb.44:                               ;   in Loop: Header=BB0_9 Depth=2
	s_wait_xcnt 0x0
	s_add_co_i32 s7, s7, 1
	v_mov_b32_e32 v3, 1
	s_cmp_eq_u32 s7, s10
	s_cselect_b32 s2, -1, 0
	s_delay_alu instid0(SALU_CYCLE_1)
	s_or_not1_b32 s2, s2, exec_lo
	s_branch .LBB0_8
.LBB0_45:                               ;   in Loop: Header=BB0_3 Depth=1
	s_or_b32 exec_lo, exec_lo, s6
	s_delay_alu instid0(SALU_CYCLE_1)
	s_mov_b32 s2, exec_lo
	s_mov_b32 s1, 0
.LBB0_46:                               ;   Parent Loop BB0_3 Depth=1
                                        ; =>  This Inner Loop Header: Depth=2
	s_ctz_i32_b32 s6, s2
	s_wait_xcnt 0x0
	v_readlane_b32 s7, v3, s6
	s_lshl_b32 s6, 1, s6
	s_delay_alu instid0(SALU_CYCLE_1)
	s_and_not1_b32 s2, s2, s6
	s_add_co_i32 s1, s1, s7
	s_cmp_lg_u32 s2, 0
	s_cbranch_scc1 .LBB0_46
; %bb.47:                               ;   in Loop: Header=BB0_3 Depth=1
	v_mbcnt_lo_u32_b32 v3, exec_lo, 0
	s_mov_b32 s2, exec_lo
	s_delay_alu instid0(VALU_DEP_1)
	v_cmpx_eq_u32_e32 0, v3
	s_xor_b32 s2, exec_lo, s2
	s_cbranch_execz .LBB0_2
; %bb.48:                               ;   in Loop: Header=BB0_3 Depth=1
	v_mov_b32_e32 v3, s1
	global_atomic_add_u32 v2, v3, s[8:9] scope:SCOPE_DEV
	s_branch .LBB0_2
.LBB0_49:
	s_endpgm
	.section	.rodata,"a",@progbits
	.p2align	6, 0x0
	.amdhsa_kernel _Z7mr32_sfPKjS0_Pii
		.amdhsa_group_segment_fixed_size 0
		.amdhsa_private_segment_fixed_size 0
		.amdhsa_kernarg_size 288
		.amdhsa_user_sgpr_count 2
		.amdhsa_user_sgpr_dispatch_ptr 0
		.amdhsa_user_sgpr_queue_ptr 0
		.amdhsa_user_sgpr_kernarg_segment_ptr 1
		.amdhsa_user_sgpr_dispatch_id 0
		.amdhsa_user_sgpr_kernarg_preload_length 0
		.amdhsa_user_sgpr_kernarg_preload_offset 0
		.amdhsa_user_sgpr_private_segment_size 0
		.amdhsa_wavefront_size32 1
		.amdhsa_uses_dynamic_stack 0
		.amdhsa_enable_private_segment 0
		.amdhsa_system_sgpr_workgroup_id_x 1
		.amdhsa_system_sgpr_workgroup_id_y 0
		.amdhsa_system_sgpr_workgroup_id_z 0
		.amdhsa_system_sgpr_workgroup_info 0
		.amdhsa_system_vgpr_workitem_id 0
		.amdhsa_next_free_vgpr 32
		.amdhsa_next_free_sgpr 19
		.amdhsa_named_barrier_count 0
		.amdhsa_reserve_vcc 1
		.amdhsa_float_round_mode_32 0
		.amdhsa_float_round_mode_16_64 0
		.amdhsa_float_denorm_mode_32 3
		.amdhsa_float_denorm_mode_16_64 3
		.amdhsa_fp16_overflow 0
		.amdhsa_memory_ordered 1
		.amdhsa_forward_progress 1
		.amdhsa_inst_pref_size 24
		.amdhsa_round_robin_scheduling 0
		.amdhsa_exception_fp_ieee_invalid_op 0
		.amdhsa_exception_fp_denorm_src 0
		.amdhsa_exception_fp_ieee_div_zero 0
		.amdhsa_exception_fp_ieee_overflow 0
		.amdhsa_exception_fp_ieee_underflow 0
		.amdhsa_exception_fp_ieee_inexact 0
		.amdhsa_exception_int_div_zero 0
	.end_amdhsa_kernel
	.text
.Lfunc_end0:
	.size	_Z7mr32_sfPKjS0_Pii, .Lfunc_end0-_Z7mr32_sfPKjS0_Pii
                                        ; -- End function
	.set _Z7mr32_sfPKjS0_Pii.num_vgpr, 32
	.set _Z7mr32_sfPKjS0_Pii.num_agpr, 0
	.set _Z7mr32_sfPKjS0_Pii.numbered_sgpr, 19
	.set _Z7mr32_sfPKjS0_Pii.num_named_barrier, 0
	.set _Z7mr32_sfPKjS0_Pii.private_seg_size, 0
	.set _Z7mr32_sfPKjS0_Pii.uses_vcc, 1
	.set _Z7mr32_sfPKjS0_Pii.uses_flat_scratch, 0
	.set _Z7mr32_sfPKjS0_Pii.has_dyn_sized_stack, 0
	.set _Z7mr32_sfPKjS0_Pii.has_recursion, 0
	.set _Z7mr32_sfPKjS0_Pii.has_indirect_call, 0
	.section	.AMDGPU.csdata,"",@progbits
; Kernel info:
; codeLenInByte = 2988
; TotalNumSgprs: 21
; NumVgprs: 32
; ScratchSize: 0
; MemoryBound: 0
; FloatMode: 240
; IeeeMode: 1
; LDSByteSize: 0 bytes/workgroup (compile time only)
; SGPRBlocks: 0
; VGPRBlocks: 1
; NumSGPRsForWavesPerEU: 21
; NumVGPRsForWavesPerEU: 32
; NamedBarCnt: 0
; Occupancy: 16
; WaveLimiterHint : 0
; COMPUTE_PGM_RSRC2:SCRATCH_EN: 0
; COMPUTE_PGM_RSRC2:USER_SGPR: 2
; COMPUTE_PGM_RSRC2:TRAP_HANDLER: 0
; COMPUTE_PGM_RSRC2:TGID_X_EN: 1
; COMPUTE_PGM_RSRC2:TGID_Y_EN: 0
; COMPUTE_PGM_RSRC2:TGID_Z_EN: 0
; COMPUTE_PGM_RSRC2:TIDIG_COMP_CNT: 0
	.text
	.protected	_Z8mr32_effPKjS0_Pii    ; -- Begin function _Z8mr32_effPKjS0_Pii
	.globl	_Z8mr32_effPKjS0_Pii
	.p2align	8
	.type	_Z8mr32_effPKjS0_Pii,@function
_Z8mr32_effPKjS0_Pii:                   ; @_Z8mr32_effPKjS0_Pii
; %bb.0:
	s_clause 0x1
	s_load_b32 s2, s[0:1], 0x2c
	s_load_b32 s3, s[0:1], 0x18
	s_bfe_u32 s4, ttmp6, 0x4000c
	s_and_b32 s5, ttmp6, 15
	s_add_co_i32 s4, s4, 1
	s_getreg_b32 s6, hwreg(HW_REG_IB_STS2, 6, 4)
	s_mul_i32 s4, ttmp9, s4
	s_mov_b32 s12, 1
	s_add_co_i32 s5, s5, s4
	s_mov_b32 s8, 0
	s_wait_kmcnt 0x0
	s_and_b32 s2, s2, 0xffff
	s_cmp_eq_u32 s6, 0
	s_cselect_b32 s4, ttmp9, s5
	s_delay_alu instid0(SALU_CYCLE_1) | instskip(SKIP_1) | instid1(VALU_DEP_1)
	v_mad_u32 v0, s4, s2, v0
	s_mov_b32 s2, exec_lo
	v_cmpx_gt_i32_e64 s3, v0
	s_cbranch_execz .LBB1_41
; %bb.1:
	s_clause 0x1
	s_load_b128 s[4:7], s[0:1], 0x0
	s_load_b64 s[10:11], s[0:1], 0x10
	s_wait_xcnt 0x0
	s_get_pc_i64 s[0:1]
	s_add_nc_u64 s[0:1], s[0:1], __const._ZL17modular_inverse32j.mask@rel64+4
	s_wait_kmcnt 0x0
	global_load_b32 v0, v0, s[6:7] scale_offset
	s_wait_xcnt 0x0
	s_mov_b64 s[6:7], 0xffffffff
	s_wait_loadcnt 0x0
	v_bfe_u32 v1, v0, 1, 7
	v_cvt_f32_u32_e32 v2, v0
	v_cvt_f32_u32_e32 v4, v0
	v_add_nc_u32_e32 v15, -1, v0
	global_load_u8 v1, v1, s[0:1]
	v_rcp_iflag_f32_e32 v2, v2
	s_wait_xcnt 0x0
	v_cmp_gt_u32_e64 s0, 0x80000001, v0
	v_fmamk_f32 v4, 0, 0x4f800000, v4
	v_and_b32_e32 v8, 1, v15
	s_delay_alu instid0(TRANS32_DEP_1) | instskip(NEXT) | instid1(VALU_DEP_2)
	v_mul_f32_e32 v2, 0x4f7ffffe, v2
	v_cmp_eq_u32_e64 s1, 0, v8
	s_delay_alu instid0(VALU_DEP_2) | instskip(SKIP_1) | instid1(VALU_DEP_1)
	v_cvt_u32_f32_e32 v2, v2
	v_sub_nc_u32_e32 v14, 0, v0
	v_mul_lo_u32 v3, v14, v2
	s_delay_alu instid0(VALU_DEP_1) | instskip(NEXT) | instid1(VALU_DEP_1)
	v_mul_hi_u32 v3, v2, v3
	v_add_nc_u32_e32 v2, v2, v3
	s_delay_alu instid0(VALU_DEP_1) | instskip(NEXT) | instid1(VALU_DEP_1)
	v_lshrrev_b32_e32 v2, 1, v2
	v_mul_lo_u32 v2, v2, v0
	s_delay_alu instid0(VALU_DEP_1) | instskip(NEXT) | instid1(VALU_DEP_1)
	v_sub_nc_u32_e32 v2, 0x80000000, v2
	v_sub_nc_u32_e32 v5, v2, v0
	v_cmp_ge_u32_e32 vcc_lo, v2, v0
	s_delay_alu instid0(VALU_DEP_2) | instskip(NEXT) | instid1(VALU_DEP_1)
	v_cndmask_b32_e32 v2, v2, v5, vcc_lo
	v_cmp_ge_u32_e32 vcc_lo, v2, v0
	s_wait_loadcnt 0x0
	v_mad_u32 v3, v0, v1, 2
	s_delay_alu instid0(VALU_DEP_1) | instskip(SKIP_2) | instid1(TRANS32_DEP_1)
	v_mul_lo_u32 v5, v3, v1
	v_rcp_f32_e32 v1, v4
	v_nop
	v_dual_mul_f32 v4, 0x5f7ffffc, v1 :: v_dual_sub_nc_u32 v3, v2, v0
	s_delay_alu instid0(VALU_DEP_1) | instskip(NEXT) | instid1(VALU_DEP_4)
	v_dual_cndmask_b32 v1, v2, v3, vcc_lo :: v_dual_mov_b32 v3, 0
	v_mad_u32 v2, v5, v0, 2
	s_delay_alu instid0(VALU_DEP_3) | instskip(NEXT) | instid1(VALU_DEP_1)
	v_mul_f32_e32 v6, 0x2f800000, v4
	v_trunc_f32_e32 v9, v6
	s_delay_alu instid0(VALU_DEP_4) | instskip(NEXT) | instid1(VALU_DEP_4)
	v_dual_lshlrev_b32 v7, 1, v1 :: v_dual_mov_b32 v1, v3
	v_mul_lo_u32 v16, v2, v5
	s_delay_alu instid0(VALU_DEP_3) | instskip(NEXT) | instid1(VALU_DEP_3)
	v_fmamk_f32 v2, v9, 0xcf800000, v4
	v_sub_nc_u32_e32 v6, v7, v0
	s_delay_alu instid0(VALU_DEP_4) | instskip(SKIP_1) | instid1(VALU_DEP_3)
	v_sub_nc_u64_e32 v[4:5], 0, v[0:1]
	v_cvt_u32_f32_e32 v9, v9
	v_min_u32_e32 v17, v7, v6
	v_cvt_u32_f32_e32 v6, v2
	s_branch .LBB1_3
.LBB1_2:                                ;   in Loop: Header=BB1_3 Depth=1
	s_wait_xcnt 0x0
	s_or_b32 exec_lo, exec_lo, s3
	s_add_co_i32 s12, s12, 1
	s_delay_alu instid0(SALU_CYCLE_1)
	s_cmp_lg_u32 s12, 4
	s_cbranch_scc0 .LBB1_41
.LBB1_3:                                ; =>This Loop Header: Depth=1
                                        ;     Child Loop BB1_7 Depth 2
                                        ;     Child Loop BB1_11 Depth 2
                                        ;       Child Loop BB1_17 Depth 3
                                        ;       Child Loop BB1_24 Depth 3
                                        ;     Child Loop BB1_38 Depth 2
	v_mov_b32_e32 v18, v14
	s_and_saveexec_b32 s2, s0
; %bb.4:                                ;   in Loop: Header=BB1_3 Depth=1
	v_mov_b32_e32 v18, v17
; %bb.5:                                ;   in Loop: Header=BB1_3 Depth=1
	s_or_b32 exec_lo, exec_lo, s2
	v_dual_mov_b32 v20, 0 :: v_dual_mov_b32 v19, v15
	s_and_saveexec_b32 s2, s1
	s_cbranch_execz .LBB1_9
; %bb.6:                                ;   in Loop: Header=BB1_3 Depth=1
	v_mov_b32_e32 v19, v15
	s_mov_b32 s3, 0
	s_mov_b32 s9, 0
.LBB1_7:                                ;   Parent Loop BB1_3 Depth=1
                                        ; =>  This Inner Loop Header: Depth=2
	s_delay_alu instid0(SALU_CYCLE_1)
	s_add_co_i32 s9, s9, 1
	s_delay_alu instid0(VALU_DEP_1) | instid1(SALU_CYCLE_1)
	v_dual_mov_b32 v20, s9 :: v_dual_bitop2_b32 v2, 2, v19 bitop3:0x40
	v_lshrrev_b32_e32 v19, 1, v19
	s_delay_alu instid0(VALU_DEP_2) | instskip(SKIP_1) | instid1(SALU_CYCLE_1)
	v_cmp_ne_u32_e32 vcc_lo, 0, v2
	s_or_b32 s3, vcc_lo, s3
	s_and_not1_b32 exec_lo, exec_lo, s3
	s_cbranch_execnz .LBB1_7
; %bb.8:                                ;   in Loop: Header=BB1_3 Depth=1
	s_or_b32 exec_lo, exec_lo, s3
.LBB1_9:                                ;   in Loop: Header=BB1_3 Depth=1
	s_delay_alu instid0(SALU_CYCLE_1)
	s_or_b32 exec_lo, exec_lo, s2
	v_sub_nc_u32_e32 v21, v0, v18
	v_cmp_lt_u32_e64 s2, 1, v20
	s_mov_b32 s13, 0
	s_mov_b32 s14, 0
	s_branch .LBB1_11
.LBB1_10:                               ;   in Loop: Header=BB1_11 Depth=2
	s_or_b32 exec_lo, exec_lo, s9
	s_delay_alu instid0(SALU_CYCLE_1) | instskip(NEXT) | instid1(SALU_CYCLE_1)
	s_and_b32 s3, exec_lo, s3
	s_or_b32 s13, s3, s13
	s_delay_alu instid0(SALU_CYCLE_1)
	s_and_not1_b32 exec_lo, exec_lo, s13
	s_cbranch_execz .LBB1_37
.LBB1_11:                               ;   Parent Loop BB1_3 Depth=1
                                        ; =>  This Loop Header: Depth=2
                                        ;       Child Loop BB1_17 Depth 3
                                        ;       Child Loop BB1_24 Depth 3
	s_load_b32 s9, s[4:5], s14 offset:0x0 scale_offset
	s_wait_kmcnt 0x0
	s_cmp_lg_u64 s[8:9], 0
	s_cbranch_scc0 .LBB1_27
; %bb.12:                               ;   in Loop: Header=BB1_11 Depth=2
	v_dual_mov_b32 v8, v6 :: v_dual_mov_b32 v7, v3
	v_mov_b32_e32 v13, v3
	s_and_b64 s[16:17], s[8:9], s[6:7]
	v_mov_b32_e32 v12, v9
	s_delay_alu instid0(VALU_DEP_3) | instskip(NEXT) | instid1(VALU_DEP_1)
	v_mul_u64_e32 v[10:11], v[4:5], v[8:9]
	v_dual_mov_b32 v2, v11 :: v_dual_mov_b32 v11, v3
	s_delay_alu instid0(VALU_DEP_1) | instskip(NEXT) | instid1(VALU_DEP_2)
	v_mul_u64_e32 v[22:23], v[6:7], v[2:3]
	v_mul_u64_e32 v[24:25], v[12:13], v[10:11]
	;; [unrolled: 1-line block ×3, first 2 shown]
	v_mul_hi_u32 v10, v6, v10
	s_delay_alu instid0(VALU_DEP_1) | instskip(SKIP_1) | instid1(VALU_DEP_2)
	v_add_nc_u64_e32 v[10:11], v[10:11], v[22:23]
	v_mov_b32_e32 v23, v3
	v_add_co_u32 v2, vcc_lo, v10, v24
	s_delay_alu instid0(VALU_DEP_3) | instskip(SKIP_1) | instid1(VALU_DEP_1)
	v_add_co_ci_u32_e32 v2, vcc_lo, v11, v25, vcc_lo
	v_add_co_ci_u32_e32 v13, vcc_lo, 0, v13, vcc_lo
	v_add_nc_u64_e32 v[10:11], v[2:3], v[12:13]
	s_delay_alu instid0(VALU_DEP_1) | instskip(NEXT) | instid1(VALU_DEP_1)
	v_add_co_u32 v10, vcc_lo, v6, v10
	v_add_co_ci_u32_e64 v2, null, v9, v11, vcc_lo
	s_delay_alu instid0(VALU_DEP_1) | instskip(NEXT) | instid1(VALU_DEP_1)
	v_mov_b32_e32 v11, v2
	v_mul_u64_e32 v[12:13], v[4:5], v[10:11]
	v_dual_mov_b32 v11, v3 :: v_dual_mov_b32 v27, v3
	s_delay_alu instid0(VALU_DEP_2) | instskip(SKIP_2) | instid1(VALU_DEP_3)
	v_dual_mov_b32 v26, v12 :: v_dual_mov_b32 v22, v13
	v_mul_hi_u32 v12, v10, v12
	v_mov_b32_e32 v13, v3
	v_mul_u64_e32 v[26:27], v[2:3], v[26:27]
	s_delay_alu instid0(VALU_DEP_4) | instskip(SKIP_1) | instid1(VALU_DEP_2)
	v_mul_u64_e32 v[24:25], v[10:11], v[22:23]
	v_mul_u64_e32 v[22:23], v[2:3], v[22:23]
	v_add_nc_u64_e32 v[12:13], v[12:13], v[24:25]
	v_mov_b32_e32 v25, v3
	s_delay_alu instid0(VALU_DEP_2) | instskip(NEXT) | instid1(VALU_DEP_3)
	v_add_co_u32 v7, vcc_lo, v12, v26
	v_add_co_ci_u32_e32 v24, vcc_lo, v13, v27, vcc_lo
	v_add_co_ci_u32_e32 v23, vcc_lo, 0, v23, vcc_lo
	s_delay_alu instid0(VALU_DEP_1) | instskip(NEXT) | instid1(VALU_DEP_1)
	v_add_nc_u64_e32 v[12:13], v[24:25], v[22:23]
	v_add_co_u32 v10, vcc_lo, v10, v12
	s_delay_alu instid0(VALU_DEP_1) | instskip(NEXT) | instid1(VALU_DEP_1)
	v_add_co_ci_u32_e64 v2, null, v2, v13, vcc_lo
	v_mul_u64_e32 v[12:13], s[16:17], v[2:3]
	s_mov_b32 s16, s9
	s_mov_b32 s17, s8
	s_delay_alu instid0(SALU_CYCLE_1) | instskip(SKIP_2) | instid1(VALU_DEP_1)
	v_mul_u64_e32 v[22:23], s[16:17], v[10:11]
	v_mul_u64_e32 v[24:25], s[16:17], v[2:3]
	v_mul_hi_u32 v10, 0, v10
	v_add_nc_u64_e32 v[10:11], v[10:11], v[12:13]
	s_delay_alu instid0(VALU_DEP_1) | instskip(NEXT) | instid1(VALU_DEP_2)
	v_add_co_u32 v2, vcc_lo, v10, v22
	v_add_co_ci_u32_e32 v2, vcc_lo, v11, v23, vcc_lo
	v_add_co_ci_u32_e32 v25, vcc_lo, 0, v25, vcc_lo
	s_delay_alu instid0(VALU_DEP_1) | instskip(NEXT) | instid1(VALU_DEP_1)
	v_add_nc_u64_e32 v[10:11], v[2:3], v[24:25]
	v_mul_u64_e32 v[10:11], v[0:1], v[10:11]
	s_delay_alu instid0(VALU_DEP_1) | instskip(NEXT) | instid1(VALU_DEP_1)
	v_sub_co_u32 v2, vcc_lo, 0, v10
	v_sub_co_ci_u32_e64 v7, null, s9, v11, vcc_lo
	s_delay_alu instid0(VALU_DEP_2) | instskip(NEXT) | instid1(VALU_DEP_1)
	v_sub_co_u32 v8, vcc_lo, v2, v0
	v_subrev_co_ci_u32_e64 v10, null, 0, v7, vcc_lo
	v_cmp_eq_u32_e64 s3, 0, v7
	s_delay_alu instid0(VALU_DEP_3) | instskip(SKIP_4) | instid1(VALU_DEP_4)
	v_cmp_ge_u32_e32 vcc_lo, v8, v0
	v_cndmask_b32_e64 v11, 0, -1, vcc_lo
	v_cmp_ge_u32_e32 vcc_lo, v2, v0
	v_cndmask_b32_e64 v12, 0, -1, vcc_lo
	v_cmp_eq_u32_e32 vcc_lo, 0, v10
	v_cndmask_b32_e32 v11, -1, v11, vcc_lo
	v_sub_co_u32 v13, vcc_lo, v8, v0
	s_delay_alu instid0(VALU_DEP_1) | instskip(NEXT) | instid1(VALU_DEP_3)
	v_subrev_co_ci_u32_e64 v22, null, 0, v10, vcc_lo
	v_cmp_ne_u32_e32 vcc_lo, 0, v11
	v_cndmask_b32_e64 v11, -1, v12, s3
	s_delay_alu instid0(VALU_DEP_3) | instskip(NEXT) | instid1(VALU_DEP_2)
	v_dual_cndmask_b32 v10, v10, v22, vcc_lo :: v_dual_cndmask_b32 v8, v8, v13, vcc_lo
	v_cmp_ne_u32_e32 vcc_lo, 0, v11
	s_delay_alu instid0(VALU_DEP_2)
	v_dual_cndmask_b32 v13, v7, v10 :: v_dual_cndmask_b32 v12, v2, v8
	s_cbranch_execnz .LBB1_14
.LBB1_13:                               ;   in Loop: Header=BB1_11 Depth=2
	v_cvt_f32_u32_e32 v2, v0
	v_sub_nc_u32_e32 v7, 0, v0
	s_delay_alu instid0(VALU_DEP_2) | instskip(SKIP_1) | instid1(TRANS32_DEP_1)
	v_rcp_iflag_f32_e32 v2, v2
	v_nop
	v_mul_f32_e32 v2, 0x4f7ffffe, v2
	s_delay_alu instid0(VALU_DEP_1) | instskip(NEXT) | instid1(VALU_DEP_1)
	v_cvt_u32_f32_e32 v2, v2
	v_mul_lo_u32 v7, v7, v2
	s_delay_alu instid0(VALU_DEP_1) | instskip(NEXT) | instid1(VALU_DEP_1)
	v_mul_hi_u32 v7, v2, v7
	v_add_nc_u32_e32 v2, v2, v7
	s_delay_alu instid0(VALU_DEP_1) | instskip(NEXT) | instid1(VALU_DEP_1)
	v_mul_hi_u32 v2, 0, v2
	v_mul_lo_u32 v2, v2, v0
	s_delay_alu instid0(VALU_DEP_1) | instskip(NEXT) | instid1(VALU_DEP_1)
	v_sub_nc_u32_e32 v2, 0, v2
	v_sub_nc_u32_e32 v7, v2, v0
	v_cmp_ge_u32_e32 vcc_lo, v2, v0
	s_delay_alu instid0(VALU_DEP_2) | instskip(NEXT) | instid1(VALU_DEP_1)
	v_cndmask_b32_e32 v2, v2, v7, vcc_lo
	v_sub_nc_u32_e32 v7, v2, v0
	v_cmp_ge_u32_e32 vcc_lo, v2, v0
	s_delay_alu instid0(VALU_DEP_2) | instskip(NEXT) | instid1(VALU_DEP_1)
	v_cndmask_b32_e32 v2, v2, v7, vcc_lo
	v_mov_b64_e32 v[12:13], v[2:3]
.LBB1_14:                               ;   in Loop: Header=BB1_11 Depth=2
	v_mov_b32_e32 v7, 6
	s_mov_b32 s9, exec_lo
	s_delay_alu instid0(VALU_DEP_2)
	v_cmpx_ne_u64_e32 0, v[12:13]
	s_cbranch_execz .LBB1_33
; %bb.15:                               ;   in Loop: Header=BB1_11 Depth=2
	v_dual_mov_b32 v10, v18 :: v_dual_mov_b32 v7, v19
	v_mov_b32_e32 v2, v12
	s_mov_b32 s15, 0
	s_branch .LBB1_17
.LBB1_16:                               ;   in Loop: Header=BB1_17 Depth=3
	s_and_not1_saveexec_b32 s3, s16
	s_delay_alu instid0(SALU_CYCLE_1) | instskip(SKIP_2) | instid1(VALU_DEP_2)
	s_or_b32 exec_lo, exec_lo, s3
	v_mul_u64_e32 v[12:13], v[2:3], v[2:3]
	v_dual_mov_b32 v25, v3 :: v_dual_lshrrev_b32 v8, 1, v7
	v_mul_lo_u32 v2, v16, v12
	s_delay_alu instid0(VALU_DEP_3) | instskip(NEXT) | instid1(VALU_DEP_2)
	v_mov_b32_e32 v24, v13
	v_mad_nc_u64_u32 v[22:23], v2, v0, v[12:13]
	s_delay_alu instid0(VALU_DEP_1) | instskip(SKIP_1) | instid1(VALU_DEP_2)
	v_mov_b32_e32 v2, v23
	v_cmp_le_u32_e64 s3, v0, v23
	v_cmp_lt_u64_e32 vcc_lo, v[2:3], v[24:25]
	s_or_b32 vcc_lo, vcc_lo, s3
	v_cndmask_b32_e32 v2, 0, v0, vcc_lo
	v_cmp_gt_u32_e32 vcc_lo, 2, v7
	s_delay_alu instid0(VALU_DEP_2) | instskip(SKIP_1) | instid1(SALU_CYCLE_1)
	v_dual_mov_b32 v7, v8 :: v_dual_sub_nc_u32 v2, v23, v2
	s_or_b32 s15, vcc_lo, s15
	s_and_not1_b32 exec_lo, exec_lo, s15
	s_cbranch_execz .LBB1_19
.LBB1_17:                               ;   Parent Loop BB1_3 Depth=1
                                        ;     Parent Loop BB1_11 Depth=2
                                        ; =>    This Inner Loop Header: Depth=3
	s_delay_alu instid0(VALU_DEP_1) | instskip(SKIP_1) | instid1(VALU_DEP_1)
	v_and_b32_e32 v8, 1, v7
	s_mov_b32 s3, exec_lo
	v_cmpx_eq_u32_e32 1, v8
	s_xor_b32 s16, exec_lo, s3
	s_cbranch_execz .LBB1_16
; %bb.18:                               ;   in Loop: Header=BB1_17 Depth=3
	v_dual_mov_b32 v11, v3 :: v_dual_mov_b32 v23, v3
	s_delay_alu instid0(VALU_DEP_1) | instskip(NEXT) | instid1(VALU_DEP_1)
	v_mul_u64_e32 v[10:11], v[2:3], v[10:11]
	v_dual_mov_b32 v25, v3 :: v_dual_mov_b32 v24, v11
	s_delay_alu instid0(VALU_DEP_2) | instskip(NEXT) | instid1(VALU_DEP_1)
	v_mul_lo_u32 v8, v16, v10
	v_mad_nc_u64_u32 v[12:13], v8, v0, v[10:11]
	s_delay_alu instid0(VALU_DEP_1) | instskip(SKIP_1) | instid1(VALU_DEP_2)
	v_mov_b32_e32 v22, v13
	v_cmp_le_u32_e64 s3, v0, v13
	v_cmp_lt_u64_e32 vcc_lo, v[22:23], v[24:25]
	s_or_b32 vcc_lo, vcc_lo, s3
	v_cndmask_b32_e32 v8, 0, v0, vcc_lo
	s_delay_alu instid0(VALU_DEP_1)
	v_sub_nc_u32_e32 v10, v13, v8
	s_branch .LBB1_16
.LBB1_19:                               ;   in Loop: Header=BB1_11 Depth=2
	s_or_b32 exec_lo, exec_lo, s15
	v_cmp_ne_u32_e32 vcc_lo, v10, v18
	v_cmp_ne_u32_e64 s3, v10, v21
	v_mov_b32_e32 v7, 6
	s_and_b32 s3, vcc_lo, s3
	s_delay_alu instid0(SALU_CYCLE_1)
	s_and_saveexec_b32 s15, s3
	s_cbranch_execz .LBB1_32
; %bb.20:                               ;   in Loop: Header=BB1_11 Depth=2
	v_dual_mov_b32 v7, 1 :: v_dual_mov_b32 v8, 1
	s_mov_b32 s3, -1
	s_and_saveexec_b32 s16, s2
	s_cbranch_execz .LBB1_29
; %bb.21:                               ;   in Loop: Header=BB1_11 Depth=2
	v_mov_b32_e32 v2, v10
	s_mov_b32 s18, 1
	s_mov_b32 s17, 0
                                        ; implicit-def: $sgpr19
                                        ; implicit-def: $sgpr21
                                        ; implicit-def: $sgpr20
	s_branch .LBB1_24
.LBB1_22:                               ;   in Loop: Header=BB1_24 Depth=3
	s_or_b32 exec_lo, exec_lo, s23
	s_delay_alu instid0(SALU_CYCLE_1)
	s_and_not1_b32 s21, s21, exec_lo
	s_and_b32 s22, s22, exec_lo
	s_and_not1_b32 s20, s20, exec_lo
	s_or_b32 s21, s21, s22
.LBB1_23:                               ;   in Loop: Header=BB1_24 Depth=3
	s_or_b32 exec_lo, exec_lo, s3
	s_xor_b32 s3, s20, -1
	s_and_b32 s22, exec_lo, s21
	s_delay_alu instid0(SALU_CYCLE_1) | instskip(SKIP_2) | instid1(SALU_CYCLE_1)
	s_or_b32 s17, s22, s17
	s_and_not1_b32 s19, s19, exec_lo
	s_and_b32 s3, s3, exec_lo
	s_or_b32 s19, s19, s3
	s_and_not1_b32 exec_lo, exec_lo, s17
	s_cbranch_execz .LBB1_28
.LBB1_24:                               ;   Parent Loop BB1_3 Depth=1
                                        ;     Parent Loop BB1_11 Depth=2
                                        ; =>    This Inner Loop Header: Depth=3
	s_delay_alu instid0(VALU_DEP_1) | instskip(SKIP_3) | instid1(VALU_DEP_2)
	v_mul_u64_e32 v[10:11], v[2:3], v[2:3]
	v_mov_b32_e32 v23, v3
	s_or_b32 s20, s20, exec_lo
	s_or_b32 s21, s21, exec_lo
                                        ; implicit-def: $vgpr8
	v_mul_lo_u32 v2, v16, v10
	s_delay_alu instid0(VALU_DEP_3) | instskip(NEXT) | instid1(VALU_DEP_2)
	v_mov_b32_e32 v22, v11
	v_mad_nc_u64_u32 v[12:13], v2, v0, v[10:11]
	s_delay_alu instid0(VALU_DEP_1) | instskip(SKIP_1) | instid1(VALU_DEP_2)
	v_mov_b32_e32 v2, v13
	v_cmp_le_u32_e64 s3, v0, v13
	v_cmp_lt_u64_e32 vcc_lo, v[2:3], v[22:23]
	s_or_b32 vcc_lo, vcc_lo, s3
	s_mov_b32 s3, exec_lo
	v_cndmask_b32_e32 v2, 0, v0, vcc_lo
	s_delay_alu instid0(VALU_DEP_1) | instskip(NEXT) | instid1(VALU_DEP_1)
	v_sub_nc_u32_e32 v2, v13, v2
	v_cmpx_ne_u32_e64 v2, v18
	s_cbranch_execz .LBB1_23
; %bb.25:                               ;   in Loop: Header=BB1_24 Depth=3
	v_mov_b32_e32 v8, s18
	s_mov_b32 s22, -1
	s_mov_b32 s23, exec_lo
	v_cmpx_ne_u32_e64 v2, v21
	s_cbranch_execz .LBB1_22
; %bb.26:                               ;   in Loop: Header=BB1_24 Depth=3
	s_add_co_i32 s18, s18, 1
	v_mov_b32_e32 v8, v20
	v_cmp_eq_u32_e32 vcc_lo, s18, v20
	s_or_not1_b32 s22, vcc_lo, exec_lo
	s_branch .LBB1_22
.LBB1_27:                               ;   in Loop: Header=BB1_11 Depth=2
                                        ; implicit-def: $vgpr12_vgpr13
	s_branch .LBB1_13
.LBB1_28:                               ;   in Loop: Header=BB1_11 Depth=2
	s_or_b32 exec_lo, exec_lo, s17
	s_delay_alu instid0(SALU_CYCLE_1)
	s_or_not1_b32 s3, s19, exec_lo
.LBB1_29:                               ;   in Loop: Header=BB1_11 Depth=2
	s_or_b32 exec_lo, exec_lo, s16
	s_and_saveexec_b32 s16, s3
; %bb.30:                               ;   in Loop: Header=BB1_11 Depth=2
	v_cmp_eq_u32_e32 vcc_lo, v8, v20
	v_cndmask_b32_e64 v7, 0, 1, vcc_lo
; %bb.31:                               ;   in Loop: Header=BB1_11 Depth=2
	s_or_b32 exec_lo, exec_lo, s16
.LBB1_32:                               ;   in Loop: Header=BB1_11 Depth=2
	s_delay_alu instid0(SALU_CYCLE_1)
	s_or_b32 exec_lo, exec_lo, s15
.LBB1_33:                               ;   in Loop: Header=BB1_11 Depth=2
	s_delay_alu instid0(SALU_CYCLE_1)
	s_or_b32 exec_lo, exec_lo, s9
	s_mov_b32 s3, -1
	s_mov_b32 s15, -1
	s_mov_b32 s9, exec_lo
	v_cmpx_gt_i32_e32 6, v7
; %bb.34:                               ;   in Loop: Header=BB1_11 Depth=2
	v_cmp_eq_u32_e32 vcc_lo, 0, v7
	s_or_not1_b32 s15, vcc_lo, exec_lo
; %bb.35:                               ;   in Loop: Header=BB1_11 Depth=2
	s_or_b32 exec_lo, exec_lo, s9
	v_mov_b32_e32 v2, 0
	s_and_saveexec_b32 s9, s15
	s_cbranch_execz .LBB1_10
; %bb.36:                               ;   in Loop: Header=BB1_11 Depth=2
	s_wait_xcnt 0x0
	s_add_co_i32 s14, s14, 1
	v_mov_b32_e32 v2, 1
	s_cmp_eq_u32 s14, s12
	s_cselect_b32 s3, -1, 0
	s_delay_alu instid0(SALU_CYCLE_1)
	s_or_not1_b32 s3, s3, exec_lo
	s_branch .LBB1_10
.LBB1_37:                               ;   in Loop: Header=BB1_3 Depth=1
	s_or_b32 exec_lo, exec_lo, s13
	s_delay_alu instid0(SALU_CYCLE_1)
	s_mov_b32 s3, exec_lo
	s_mov_b32 s2, 0
.LBB1_38:                               ;   Parent Loop BB1_3 Depth=1
                                        ; =>  This Inner Loop Header: Depth=2
	s_ctz_i32_b32 s9, s3
	s_delay_alu instid0(SALU_CYCLE_1) | instskip(SKIP_1) | instid1(SALU_CYCLE_1)
	v_readlane_b32 s13, v2, s9
	s_lshl_b32 s9, 1, s9
	s_and_not1_b32 s3, s3, s9
	s_add_co_i32 s2, s2, s13
	s_cmp_lg_u32 s3, 0
	s_cbranch_scc1 .LBB1_38
; %bb.39:                               ;   in Loop: Header=BB1_3 Depth=1
	v_mbcnt_lo_u32_b32 v2, exec_lo, 0
	s_mov_b32 s3, exec_lo
	s_delay_alu instid0(VALU_DEP_1)
	v_cmpx_eq_u32_e32 0, v2
	s_xor_b32 s3, exec_lo, s3
	s_cbranch_execz .LBB1_2
; %bb.40:                               ;   in Loop: Header=BB1_3 Depth=1
	v_mov_b32_e32 v2, s2
	global_atomic_add_u32 v3, v2, s[10:11] scope:SCOPE_DEV
	s_branch .LBB1_2
.LBB1_41:
	s_endpgm
	.section	.rodata,"a",@progbits
	.p2align	6, 0x0
	.amdhsa_kernel _Z8mr32_effPKjS0_Pii
		.amdhsa_group_segment_fixed_size 0
		.amdhsa_private_segment_fixed_size 0
		.amdhsa_kernarg_size 288
		.amdhsa_user_sgpr_count 2
		.amdhsa_user_sgpr_dispatch_ptr 0
		.amdhsa_user_sgpr_queue_ptr 0
		.amdhsa_user_sgpr_kernarg_segment_ptr 1
		.amdhsa_user_sgpr_dispatch_id 0
		.amdhsa_user_sgpr_kernarg_preload_length 0
		.amdhsa_user_sgpr_kernarg_preload_offset 0
		.amdhsa_user_sgpr_private_segment_size 0
		.amdhsa_wavefront_size32 1
		.amdhsa_uses_dynamic_stack 0
		.amdhsa_enable_private_segment 0
		.amdhsa_system_sgpr_workgroup_id_x 1
		.amdhsa_system_sgpr_workgroup_id_y 0
		.amdhsa_system_sgpr_workgroup_id_z 0
		.amdhsa_system_sgpr_workgroup_info 0
		.amdhsa_system_vgpr_workitem_id 0
		.amdhsa_next_free_vgpr 28
		.amdhsa_next_free_sgpr 24
		.amdhsa_named_barrier_count 0
		.amdhsa_reserve_vcc 1
		.amdhsa_float_round_mode_32 0
		.amdhsa_float_round_mode_16_64 0
		.amdhsa_float_denorm_mode_32 3
		.amdhsa_float_denorm_mode_16_64 3
		.amdhsa_fp16_overflow 0
		.amdhsa_memory_ordered 1
		.amdhsa_forward_progress 1
		.amdhsa_inst_pref_size 16
		.amdhsa_round_robin_scheduling 0
		.amdhsa_exception_fp_ieee_invalid_op 0
		.amdhsa_exception_fp_denorm_src 0
		.amdhsa_exception_fp_ieee_div_zero 0
		.amdhsa_exception_fp_ieee_overflow 0
		.amdhsa_exception_fp_ieee_underflow 0
		.amdhsa_exception_fp_ieee_inexact 0
		.amdhsa_exception_int_div_zero 0
	.end_amdhsa_kernel
	.text
.Lfunc_end1:
	.size	_Z8mr32_effPKjS0_Pii, .Lfunc_end1-_Z8mr32_effPKjS0_Pii
                                        ; -- End function
	.set _Z8mr32_effPKjS0_Pii.num_vgpr, 28
	.set _Z8mr32_effPKjS0_Pii.num_agpr, 0
	.set _Z8mr32_effPKjS0_Pii.numbered_sgpr, 24
	.set _Z8mr32_effPKjS0_Pii.num_named_barrier, 0
	.set _Z8mr32_effPKjS0_Pii.private_seg_size, 0
	.set _Z8mr32_effPKjS0_Pii.uses_vcc, 1
	.set _Z8mr32_effPKjS0_Pii.uses_flat_scratch, 0
	.set _Z8mr32_effPKjS0_Pii.has_dyn_sized_stack, 0
	.set _Z8mr32_effPKjS0_Pii.has_recursion, 0
	.set _Z8mr32_effPKjS0_Pii.has_indirect_call, 0
	.section	.AMDGPU.csdata,"",@progbits
; Kernel info:
; codeLenInByte = 2040
; TotalNumSgprs: 26
; NumVgprs: 28
; ScratchSize: 0
; MemoryBound: 0
; FloatMode: 240
; IeeeMode: 1
; LDSByteSize: 0 bytes/workgroup (compile time only)
; SGPRBlocks: 0
; VGPRBlocks: 1
; NumSGPRsForWavesPerEU: 26
; NumVGPRsForWavesPerEU: 28
; NamedBarCnt: 0
; Occupancy: 16
; WaveLimiterHint : 0
; COMPUTE_PGM_RSRC2:SCRATCH_EN: 0
; COMPUTE_PGM_RSRC2:USER_SGPR: 2
; COMPUTE_PGM_RSRC2:TRAP_HANDLER: 0
; COMPUTE_PGM_RSRC2:TGID_X_EN: 1
; COMPUTE_PGM_RSRC2:TGID_Y_EN: 0
; COMPUTE_PGM_RSRC2:TGID_Z_EN: 0
; COMPUTE_PGM_RSRC2:TIDIG_COMP_CNT: 0
	.text
	.p2alignl 7, 3214868480
	.fill 96, 4, 3214868480
	.section	.AMDGPU.gpr_maximums,"",@progbits
	.set amdgpu.max_num_vgpr, 0
	.set amdgpu.max_num_agpr, 0
	.set amdgpu.max_num_sgpr, 0
	.text
	.type	__const._ZL17modular_inverse32j.mask,@object ; @__const._ZL17modular_inverse32j.mask
	.section	.rodata,"a",@progbits
	.p2align	4, 0x0
__const._ZL17modular_inverse32j.mask:
	.ascii	"\377U3I\307];\021\017\345\303Y\327\355\313!\037uSi\347}[1/\005\343y\367\r\353A?\225s\211\007\235{QO%\003\231\027-\013a_\265\223\251'\275\233qoE#\2717M+\201\177\325\263\311G\335\273\221\217eC\331WmK\241\237\365\323\351g\375\333\261\257\205c\371w\215k\301\277\025\363\t\207\035\373\321\317\245\203\031\227\255\213\341\3375\023)\247=\033\361\357\305\2439\267\315\253\001"
	.size	__const._ZL17modular_inverse32j.mask, 128

	.type	__hip_cuid_8d85c1122563e2e6,@object ; @__hip_cuid_8d85c1122563e2e6
	.section	.bss,"aw",@nobits
	.globl	__hip_cuid_8d85c1122563e2e6
__hip_cuid_8d85c1122563e2e6:
	.byte	0                               ; 0x0
	.size	__hip_cuid_8d85c1122563e2e6, 1

	.ident	"AMD clang version 22.0.0git (https://github.com/RadeonOpenCompute/llvm-project roc-7.2.4 26084 f58b06dce1f9c15707c5f808fd002e18c2accf7e)"
	.section	".note.GNU-stack","",@progbits
	.addrsig
	.addrsig_sym __hip_cuid_8d85c1122563e2e6
	.amdgpu_metadata
---
amdhsa.kernels:
  - .args:
      - .actual_access:  read_only
        .address_space:  global
        .offset:         0
        .size:           8
        .value_kind:     global_buffer
      - .actual_access:  read_only
        .address_space:  global
        .offset:         8
        .size:           8
        .value_kind:     global_buffer
      - .address_space:  global
        .offset:         16
        .size:           8
        .value_kind:     global_buffer
      - .offset:         24
        .size:           4
        .value_kind:     by_value
      - .offset:         32
        .size:           4
        .value_kind:     hidden_block_count_x
      - .offset:         36
        .size:           4
        .value_kind:     hidden_block_count_y
      - .offset:         40
        .size:           4
        .value_kind:     hidden_block_count_z
      - .offset:         44
        .size:           2
        .value_kind:     hidden_group_size_x
      - .offset:         46
        .size:           2
        .value_kind:     hidden_group_size_y
      - .offset:         48
        .size:           2
        .value_kind:     hidden_group_size_z
      - .offset:         50
        .size:           2
        .value_kind:     hidden_remainder_x
      - .offset:         52
        .size:           2
        .value_kind:     hidden_remainder_y
      - .offset:         54
        .size:           2
        .value_kind:     hidden_remainder_z
      - .offset:         72
        .size:           8
        .value_kind:     hidden_global_offset_x
      - .offset:         80
        .size:           8
        .value_kind:     hidden_global_offset_y
      - .offset:         88
        .size:           8
        .value_kind:     hidden_global_offset_z
      - .offset:         96
        .size:           2
        .value_kind:     hidden_grid_dims
    .group_segment_fixed_size: 0
    .kernarg_segment_align: 8
    .kernarg_segment_size: 288
    .language:       OpenCL C
    .language_version:
      - 2
      - 0
    .max_flat_workgroup_size: 1024
    .name:           _Z7mr32_sfPKjS0_Pii
    .private_segment_fixed_size: 0
    .sgpr_count:     21
    .sgpr_spill_count: 0
    .symbol:         _Z7mr32_sfPKjS0_Pii.kd
    .uniform_work_group_size: 1
    .uses_dynamic_stack: false
    .vgpr_count:     32
    .vgpr_spill_count: 0
    .wavefront_size: 32
  - .args:
      - .actual_access:  read_only
        .address_space:  global
        .offset:         0
        .size:           8
        .value_kind:     global_buffer
      - .actual_access:  read_only
        .address_space:  global
        .offset:         8
        .size:           8
        .value_kind:     global_buffer
      - .address_space:  global
        .offset:         16
        .size:           8
        .value_kind:     global_buffer
      - .offset:         24
        .size:           4
        .value_kind:     by_value
      - .offset:         32
        .size:           4
        .value_kind:     hidden_block_count_x
      - .offset:         36
        .size:           4
        .value_kind:     hidden_block_count_y
      - .offset:         40
        .size:           4
        .value_kind:     hidden_block_count_z
      - .offset:         44
        .size:           2
        .value_kind:     hidden_group_size_x
      - .offset:         46
        .size:           2
        .value_kind:     hidden_group_size_y
      - .offset:         48
        .size:           2
        .value_kind:     hidden_group_size_z
      - .offset:         50
        .size:           2
        .value_kind:     hidden_remainder_x
      - .offset:         52
        .size:           2
        .value_kind:     hidden_remainder_y
      - .offset:         54
        .size:           2
        .value_kind:     hidden_remainder_z
      - .offset:         72
        .size:           8
        .value_kind:     hidden_global_offset_x
      - .offset:         80
        .size:           8
        .value_kind:     hidden_global_offset_y
      - .offset:         88
        .size:           8
        .value_kind:     hidden_global_offset_z
      - .offset:         96
        .size:           2
        .value_kind:     hidden_grid_dims
    .group_segment_fixed_size: 0
    .kernarg_segment_align: 8
    .kernarg_segment_size: 288
    .language:       OpenCL C
    .language_version:
      - 2
      - 0
    .max_flat_workgroup_size: 1024
    .name:           _Z8mr32_effPKjS0_Pii
    .private_segment_fixed_size: 0
    .sgpr_count:     26
    .sgpr_spill_count: 0
    .symbol:         _Z8mr32_effPKjS0_Pii.kd
    .uniform_work_group_size: 1
    .uses_dynamic_stack: false
    .vgpr_count:     28
    .vgpr_spill_count: 0
    .wavefront_size: 32
amdhsa.target:   amdgcn-amd-amdhsa--gfx1250
amdhsa.version:
  - 1
  - 2
...

	.end_amdgpu_metadata
